;; amdgpu-corpus repo=zjin-lcf/HeCBench kind=compiled arch=gfx90a opt=O3
	.text
	.amdgcn_target "amdgcn-amd-amdhsa--gfx90a"
	.amdhsa_code_object_version 6
	.protected	_Z14kernel_w_blockPKhS0_Pj ; -- Begin function _Z14kernel_w_blockPKhS0_Pj
	.globl	_Z14kernel_w_blockPKhS0_Pj
	.p2align	8
	.type	_Z14kernel_w_blockPKhS0_Pj,@function
_Z14kernel_w_blockPKhS0_Pj:             ; @_Z14kernel_w_blockPKhS0_Pj
; %bb.0:
	s_load_dword s0, s[4:5], 0x24
	s_add_u32 s8, s4, 24
	s_addc_u32 s9, s5, 0
	s_waitcnt lgkmcnt(0)
	s_and_b32 s7, s0, 0xffff
	s_mul_i32 s6, s6, s7
	v_add_u32_e32 v0, s6, v0
	s_mov_b32 s0, 0x100000
	v_cmp_gt_u32_e32 vcc, s0, v0
	s_and_saveexec_b64 s[0:1], vcc
	s_cbranch_execz .LBB0_3
; %bb.1:
	s_load_dword s6, s[8:9], 0x0
	s_load_dwordx4 s[0:3], s[4:5], 0x0
	s_load_dwordx2 s[10:11], s[4:5], 0x10
	v_mov_b32_e32 v1, 0
	v_lshlrev_b64 v[2:3], 8, v[0:1]
	s_mov_b32 s5, 0
	s_waitcnt lgkmcnt(0)
	s_mul_i32 s4, s6, s7
	v_mov_b32_e32 v4, s11
	v_add_co_u32_e32 v2, vcc, s10, v2
	v_addc_co_u32_e32 v3, vcc, v3, v4, vcc
	s_movk_i32 s6, 0xf8
	v_add_co_u32_e32 v16, vcc, s6, v2
	s_lshl_b64 s[6:7], s[4:5], 8
	v_addc_co_u32_e32 v17, vcc, 0, v3, vcc
	s_mov_b64 s[8:9], 0
	s_mov_b32 s12, 0x10203
	v_mov_b32_e32 v22, s5
	v_mov_b32_e32 v23, s7
	s_mov_b64 s[10:11], 0xfffff
	v_mov_b32_e32 v24, 8
	v_pk_mov_b32 v[18:19], v[0:1], v[0:1] op_sel:[0,1]
.LBB0_2:                                ; =>This Inner Loop Header: Depth=1
	global_load_dwordx4 v[10:13], v1, s[0:1]
	global_load_dwordx4 v[2:5], v1, s[2:3]
	global_load_dwordx2 v[20:21], v1, s[2:3] offset:32
	global_load_dwordx4 v[6:9], v1, s[2:3] offset:16
	v_and_b32_e32 v0, 0xffff, v18
	v_alignbit_b32 v14, v19, v18, 8
	v_perm_b32 v0, 0, v0, s12
	v_and_b32_e32 v14, 0xffffff00, v14
	v_add_u32_e32 v0, v0, v14
	v_lshrrev_b32_e32 v14, 7, v0
	v_alignbit_b32 v15, v0, v0, 18
	v_xor_b32_e32 v26, v14, v15
	v_lshrrev_b32_e32 v25, 3, v0
	v_add_co_u32_e32 v18, vcc, s4, v18
	v_addc_co_u32_e32 v19, vcc, v19, v22, vcc
	v_cmp_lt_u64_e32 vcc, s[10:11], v[18:19]
	s_waitcnt vmcnt(3)
	v_readfirstlane_b32 s5, v11
	v_readfirstlane_b32 s7, v12
	s_waitcnt vmcnt(2)
	v_readfirstlane_b32 s13, v2
	s_waitcnt vmcnt(1)
	v_readfirstlane_b32 s14, v20
	v_lshlrev_b32_e32 v11, 8, v10
	v_lshlrev_b32_e32 v15, 8, v13
	;; [unrolled: 1-line block ×5, first 2 shown]
	s_waitcnt vmcnt(0)
	v_lshlrev_b32_e32 v40, 8, v7
	v_lshlrev_b32_e32 v43, 8, v8
	;; [unrolled: 1-line block ×4, first 2 shown]
	s_lshl_b32 s20, s5, 8
	s_lshl_b32 s22, s7, 8
	;; [unrolled: 1-line block ×3, first 2 shown]
	v_lshlrev_b32_e32 v2, 24, v10
	v_lshlrev_b32_e32 v14, 24, v13
	;; [unrolled: 1-line block ×10, first 2 shown]
	s_lshr_b32 s15, s5, 24
	s_lshr_b32 s16, s7, 24
	;; [unrolled: 1-line block ×3, first 2 shown]
	v_and_b32_e32 v11, 0xff0000, v11
	s_lshl_b32 s19, s5, 24
	s_bfe_u32 s5, s5, 0x80010
	s_lshl_b32 s21, s7, 24
	s_bfe_u32 s7, s7, 0x80010
	v_and_b32_e32 v15, 0xff0000, v15
	s_lshl_b32 s23, s13, 24
	s_bfe_u32 s13, s13, 0x80010
	v_and_b32_e32 v28, 0xff0000, v28
	v_and_b32_e32 v31, 0xff0000, v31
	;; [unrolled: 1-line block ×6, first 2 shown]
	s_lshl_b32 s26, s14, 8
	v_and_b32_e32 v49, 0xff0000, v49
	s_and_b32 s20, s20, 0xff0000
	s_and_b32 s22, s22, 0xff0000
	;; [unrolled: 1-line block ×3, first 2 shown]
	v_lshlrev_b32_sdwa v20, v24, v13 dst_sel:DWORD dst_unused:UNUSED_PAD src0_sel:DWORD src1_sel:BYTE_2
	v_lshlrev_b32_sdwa v29, v24, v3 dst_sel:DWORD dst_unused:UNUSED_PAD src0_sel:DWORD src1_sel:BYTE_2
	;; [unrolled: 1-line block ×3, first 2 shown]
	v_lshlrev_b32_e32 v36, 24, v6
	v_lshlrev_b32_sdwa v41, v24, v7 dst_sel:DWORD dst_unused:UNUSED_PAD src0_sel:DWORD src1_sel:BYTE_2
	v_lshlrev_b32_sdwa v44, v24, v8 dst_sel:DWORD dst_unused:UNUSED_PAD src0_sel:DWORD src1_sel:BYTE_2
	;; [unrolled: 1-line block ×4, first 2 shown]
	s_lshr_b32 s18, s14, 24
	v_and_b32_e32 v37, 0xff0000, v37
	s_lshl_b32 s25, s14, 24
	s_bfe_u32 s14, s14, 0x80010
	v_or_b32_e32 v2, v11, v2
	s_lshl_b32 s5, s5, 8
	s_lshl_b32 s7, s7, 8
	v_or_b32_e32 v11, v15, v14
	s_lshl_b32 s13, s13, 8
	v_or_b32_e32 v14, v28, v27
	v_or_b32_e32 v15, v31, v30
	;; [unrolled: 1-line block ×6, first 2 shown]
	s_and_b32 s26, s26, 0xff0000
	v_or_b32_e32 v34, v49, v48
	s_or_b32 s19, s20, s19
	s_or_b32 s20, s22, s21
	;; [unrolled: 1-line block ×3, first 2 shown]
	v_lshlrev_b32_sdwa v12, v24, v10 dst_sel:DWORD dst_unused:UNUSED_PAD src0_sel:DWORD src1_sel:BYTE_2
	v_lshlrev_b32_sdwa v35, v24, v5 dst_sel:DWORD dst_unused:UNUSED_PAD src0_sel:DWORD src1_sel:BYTE_2
	;; [unrolled: 1-line block ×3, first 2 shown]
	v_or_b32_e32 v28, v37, v36
	s_lshl_b32 s14, s14, 8
	v_or_b32_e32 v11, v11, v20
	v_or_b32_e32 v14, v14, v29
	;; [unrolled: 1-line block ×6, first 2 shown]
	s_or_b32 s22, s26, s25
	v_or_b32_e32 v32, v34, v50
	s_or_b32 s5, s19, s5
	s_or_b32 s7, s20, s7
	;; [unrolled: 1-line block ×3, first 2 shown]
	v_or_b32_e32 v2, v2, v12
	v_or_b32_e32 v27, v27, v35
	;; [unrolled: 1-line block ×3, first 2 shown]
	v_or_b32_sdwa v15, v11, v13 dst_sel:DWORD dst_unused:UNUSED_PAD src0_sel:DWORD src1_sel:BYTE_3
	v_or_b32_sdwa v3, v14, v3 dst_sel:DWORD dst_unused:UNUSED_PAD src0_sel:DWORD src1_sel:BYTE_3
	;; [unrolled: 1-line block ×4, first 2 shown]
	s_or_b32 s14, s22, s14
	v_or_b32_sdwa v11, v32, v21 dst_sel:DWORD dst_unused:UNUSED_PAD src0_sel:DWORD src1_sel:BYTE_3
	s_or_b32 s5, s5, s15
	s_or_b32 s7, s7, s16
	;; [unrolled: 1-line block ×3, first 2 shown]
	v_or_b32_sdwa v12, v2, v10 dst_sel:DWORD dst_unused:UNUSED_PAD src0_sel:DWORD src1_sel:BYTE_3
	v_lshrrev_b32_e32 v10, 10, v32
	v_or_b32_sdwa v6, v28, v6 dst_sel:DWORD dst_unused:UNUSED_PAD src0_sel:DWORD src1_sel:BYTE_3
	v_or_b32_sdwa v5, v27, v5 dst_sel:DWORD dst_unused:UNUSED_PAD src0_sel:DWORD src1_sel:BYTE_3
	;; [unrolled: 1-line block ×4, first 2 shown]
	s_or_b32 s15, s14, s18
	v_alignbit_b32 v21, v11, v11, 19
	v_alignbit_b32 v27, v15, v15, 7
	;; [unrolled: 1-line block ×9, first 2 shown]
	v_mov_b32_e32 v13, s5
	v_mov_b32_e32 v14, s7
	;; [unrolled: 1-line block ×3, first 2 shown]
	v_alignbit_b32 v54, s5, s5, 7
	v_alignbit_b32 v55, s5, s5, 18
	;; [unrolled: 1-line block ×5, first 2 shown]
	v_lshrrev_b32_e32 v29, 3, v15
	v_lshrrev_b32_e32 v32, 3, v3
	;; [unrolled: 1-line block ×3, first 2 shown]
	global_store_dwordx4 v[16:17], v[4:7], off offset:-216
	s_lshr_b32 s16, s5, 3
	v_xor_b32_e32 v21, v21, v10
	s_lshr_b32 s17, s7, 3
	v_xor_b32_e32 v27, v27, v28
	v_alignbit_b32 v28, s13, s13, 7
	v_xor_b32_e32 v30, v30, v31
	v_alignbit_b32 v31, s13, s13, 18
	v_xor_b32_e32 v33, v33, v34
	v_xor_b32_e32 v34, v36, v37
	v_alignbit_b32 v36, s15, s15, 7
	v_alignbit_b32 v37, s15, s15, 18
	global_store_dwordx4 v[16:17], v[12:15], off offset:-248
	global_store_dwordx4 v[16:17], v[0:3], off offset:-232
	v_xor_b32_e32 v14, v58, v59
	v_xor_b32_e32 v2, v54, v55
	s_lshr_b32 s14, s14, 10
	v_alignbit_b32 v57, s15, s15, 19
	s_lshr_b32 s18, s13, 3
	s_lshr_b32 s19, s15, 3
	v_xor_b32_e32 v20, v21, v20
	v_xor_b32_e32 v21, v27, v29
	v_xor_b32_e32 v27, v28, v31
	v_xor_b32_e32 v28, v30, v32
	v_xor_b32_e32 v29, v33, v35
	v_xor_b32_e32 v31, v36, v37
	v_xor_b32_e32 v2, s16, v2
	v_xor_b32_e32 v14, s17, v14
	v_alignbit_b32 v39, v11, v11, 7
	v_alignbit_b32 v40, v11, v11, 18
	;; [unrolled: 1-line block ×9, first 2 shown]
	v_xor_b32_e32 v13, s14, v57
	v_xor_b32_e32 v27, s18, v27
	v_add_u32_e32 v28, s13, v28
	v_add_u32_e32 v29, v29, v3
	v_xor_b32_e32 v3, s19, v31
	v_add_u32_e32 v2, v2, v12
	v_add_u32_e32 v12, s5, v14
	v_lshrrev_b32_e32 v38, 3, v9
	v_lshrrev_b32_e32 v41, 3, v11
	;; [unrolled: 1-line block ×5, first 2 shown]
	v_alignbit_b32 v51, v8, v8, 7
	v_alignbit_b32 v52, v8, v8, 18
	v_xor_b32_e32 v39, v39, v40
	v_mov_b32_e32 v10, s15
	v_xor_b32_e32 v40, v42, v43
	v_xor_b32_e32 v42, v47, v48
	;; [unrolled: 1-line block ×4, first 2 shown]
	v_add_u32_e32 v14, s15, v27
	v_add_u32_e32 v27, v28, v11
	;; [unrolled: 1-line block ×5, first 2 shown]
	v_lshrrev_b32_e32 v53, 3, v8
	v_xor_b32_e32 v45, v51, v52
	v_xor_b32_e32 v30, v34, v38
	;; [unrolled: 1-line block ×3, first 2 shown]
	global_store_dwordx4 v[16:17], v[8:11], off offset:-200
	v_xor_b32_e32 v33, v43, v50
	v_xor_b32_e32 v10, v40, v44
	;; [unrolled: 1-line block ×3, first 2 shown]
	v_add_u32_e32 v2, v2, v13
	v_add_u32_e32 v3, v3, v20
	v_xor_b32_e32 v35, v45, v53
	v_add_u32_e32 v31, s15, v32
	v_add_u32_e32 v21, s7, v21
	;; [unrolled: 1-line block ×5, first 2 shown]
	v_alignbit_b32 v5, v2, v2, 17
	v_alignbit_b32 v6, v2, v2, 19
	;; [unrolled: 1-line block ×4, first 2 shown]
	v_add_u32_e32 v33, v35, v7
	v_add_u32_e32 v7, v21, v7
	v_lshrrev_b32_e32 v20, 10, v3
	v_lshrrev_b32_e32 v21, 10, v2
	v_add_u32_e32 v34, v4, v3
	v_alignbit_b32 v4, v2, v2, 7
	v_alignbit_b32 v35, v2, v2, 18
	;; [unrolled: 1-line block ×4, first 2 shown]
	v_xor_b32_e32 v12, v12, v13
	v_xor_b32_e32 v5, v5, v6
	v_lshrrev_b32_e32 v36, 3, v2
	v_lshrrev_b32_e32 v39, 3, v3
	v_xor_b32_e32 v4, v4, v35
	v_xor_b32_e32 v6, v37, v38
	v_xor_b32_e32 v5, v5, v21
	v_xor_b32_e32 v12, v12, v20
	v_add_u32_e32 v30, v30, v8
	v_xor_b32_e32 v13, v4, v36
	v_xor_b32_e32 v6, v6, v39
	v_add_u32_e32 v8, v12, v8
	v_add_u32_e32 v4, v7, v5
	;; [unrolled: 1-line block ×4, first 2 shown]
	v_alignbit_b32 v6, v4, v4, 17
	v_alignbit_b32 v7, v4, v4, 19
	v_lshrrev_b32_e32 v8, 10, v4
	v_alignbit_b32 v15, v4, v4, 7
	v_alignbit_b32 v20, v4, v4, 18
	v_xad_u32 v5, v26, v25, v5
	v_xor_b32_e32 v6, v6, v7
	v_add_u32_e32 v29, v29, v2
	v_lshrrev_b32_e32 v21, 3, v4
	v_xor_b32_e32 v7, v15, v20
	global_store_dwordx4 v[16:17], v[2:5], off offset:-184
	v_lshrrev_b32_e32 v15, 10, v5
	v_xor_b32_e32 v2, v6, v8
	v_alignbit_b32 v6, v5, v5, 17
	v_alignbit_b32 v8, v5, v5, 19
	;; [unrolled: 1-line block ×4, first 2 shown]
	v_xor_b32_e32 v7, v7, v21
	v_xor_b32_e32 v6, v6, v8
	v_add_u32_e32 v2, v2, v9
	v_lshrrev_b32_e32 v26, 3, v5
	v_xor_b32_e32 v8, v20, v25
	v_add_u32_e32 v20, v7, v3
	v_xad_u32 v7, v6, v15, v14
	v_add_u32_e32 v6, v2, v0
	v_add_u32_e32 v11, v13, v11
	;; [unrolled: 1-line block ×3, first 2 shown]
	v_xad_u32 v14, v8, v26, v4
	v_alignbit_b32 v0, v7, v7, 17
	v_alignbit_b32 v2, v7, v7, 19
	;; [unrolled: 1-line block ×6, first 2 shown]
	v_lshrrev_b32_e32 v3, 10, v7
	v_lshrrev_b32_e32 v25, 10, v6
	v_alignbit_b32 v26, v6, v6, 7
	v_alignbit_b32 v32, v6, v6, 18
	v_xor_b32_e32 v0, v0, v2
	v_xor_b32_e32 v2, v4, v8
	;; [unrolled: 1-line block ×3, first 2 shown]
	v_lshrrev_b32_e32 v15, 3, v7
	v_lshrrev_b32_e32 v35, 3, v6
	v_xor_b32_e32 v21, v26, v32
	v_xad_u32 v8, v4, v25, v27
	v_xad_u32 v9, v0, v3, v29
	;; [unrolled: 1-line block ×4, first 2 shown]
	v_alignbit_b32 v2, v8, v8, 17
	v_alignbit_b32 v3, v8, v8, 19
	;; [unrolled: 1-line block ×4, first 2 shown]
	v_lshrrev_b32_e32 v4, 10, v8
	v_lshrrev_b32_e32 v26, 10, v9
	v_alignbit_b32 v27, v8, v8, 7
	v_alignbit_b32 v29, v8, v8, 18
	v_xor_b32_e32 v2, v2, v3
	v_xor_b32_e32 v3, v21, v25
	v_alignbit_b32 v35, v9, v9, 7
	v_alignbit_b32 v36, v9, v9, 18
	v_xor_b32_e32 v21, v27, v29
	v_xad_u32 v27, v2, v4, v34
	v_xad_u32 v2, v3, v26, v13
	v_lshrrev_b32_e32 v32, 3, v8
	v_lshrrev_b32_e32 v37, 3, v9
	v_xor_b32_e32 v25, v35, v36
	v_alignbit_b32 v3, v27, v27, 17
	v_alignbit_b32 v4, v27, v27, 19
	;; [unrolled: 1-line block ×4, first 2 shown]
	v_xad_u32 v13, v21, v32, v7
	v_xad_u32 v21, v25, v37, v8
	v_lshrrev_b32_e32 v25, 10, v27
	v_lshrrev_b32_e32 v32, 10, v2
	v_xor_b32_e32 v3, v3, v4
	v_xor_b32_e32 v4, v26, v29
	v_alignbit_b32 v34, v27, v27, 7
	v_alignbit_b32 v35, v27, v27, 18
	;; [unrolled: 1-line block ×4, first 2 shown]
	v_xor_b32_e32 v3, v3, v25
	v_xor_b32_e32 v4, v4, v32
	v_lshrrev_b32_e32 v36, 3, v27
	v_lshrrev_b32_e32 v39, 3, v2
	v_xor_b32_e32 v26, v34, v35
	v_xor_b32_e32 v29, v37, v38
	v_add3_u32 v3, v10, v5, v3
	v_add3_u32 v4, v6, v33, v4
	global_store_dwordx4 v[16:17], v[6:9], off offset:-168
	v_xad_u32 v25, v26, v36, v9
	v_xad_u32 v26, v29, v39, v27
	v_alignbit_b32 v5, v3, v3, 17
	v_alignbit_b32 v6, v3, v3, 19
	;; [unrolled: 1-line block ×4, first 2 shown]
	v_lshrrev_b32_e32 v10, 10, v3
	v_lshrrev_b32_e32 v33, 10, v4
	v_xor_b32_e32 v5, v5, v6
	v_xor_b32_e32 v6, v29, v32
	;; [unrolled: 1-line block ×4, first 2 shown]
	v_add3_u32 v5, v30, v7, v5
	v_add3_u32 v10, v28, v8, v6
	v_alignbit_b32 v6, v5, v5, 17
	v_alignbit_b32 v7, v5, v5, 19
	;; [unrolled: 1-line block ×4, first 2 shown]
	v_lshrrev_b32_e32 v8, 10, v5
	v_lshrrev_b32_e32 v33, 10, v10
	v_xor_b32_e32 v6, v6, v7
	v_xor_b32_e32 v7, v28, v30
	;; [unrolled: 1-line block ×4, first 2 shown]
	v_add3_u32 v6, v31, v9, v6
	v_add3_u32 v7, v27, v11, v7
	global_store_dword v[16:17], v27, off offset:-152
	v_alignbit_b32 v8, v6, v6, 17
	v_alignbit_b32 v9, v6, v6, 19
	;; [unrolled: 1-line block ×4, first 2 shown]
	v_lshrrev_b32_e32 v11, 10, v6
	v_lshrrev_b32_e32 v33, 10, v7
	v_xor_b32_e32 v8, v8, v9
	v_xor_b32_e32 v9, v27, v31
	v_alignbit_b32 v34, v3, v3, 7
	v_alignbit_b32 v35, v3, v3, 18
	;; [unrolled: 1-line block ×4, first 2 shown]
	v_xor_b32_e32 v8, v8, v11
	v_xor_b32_e32 v9, v9, v33
	v_lshrrev_b32_e32 v36, 3, v3
	v_lshrrev_b32_e32 v39, 3, v4
	v_xor_b32_e32 v29, v34, v35
	v_xor_b32_e32 v32, v37, v38
	v_add3_u32 v8, v12, v2, v8
	v_add3_u32 v9, v20, v3, v9
	v_xad_u32 v29, v29, v36, v2
	v_xad_u32 v32, v32, v39, v3
	global_store_dwordx4 v[16:17], v[2:5], off offset:-148
	v_alignbit_b32 v12, v9, v9, 17
	v_alignbit_b32 v2, v8, v8, 17
	v_alignbit_b32 v3, v8, v8, 19
	v_alignbit_b32 v20, v9, v9, 19
	v_alignbit_b32 v34, v5, v5, 7
	v_alignbit_b32 v35, v5, v5, 18
	v_lshrrev_b32_e32 v11, 10, v8
	v_lshrrev_b32_e32 v33, 10, v9
	v_xor_b32_e32 v2, v2, v3
	v_xor_b32_e32 v3, v12, v20
	v_lshrrev_b32_e32 v36, 3, v5
	v_alignbit_b32 v37, v10, v10, 7
	v_alignbit_b32 v38, v10, v10, 18
	v_xor_b32_e32 v28, v34, v35
	v_alignbit_b32 v34, v6, v6, 7
	v_alignbit_b32 v35, v6, v6, 18
	v_xor_b32_e32 v2, v2, v11
	v_xor_b32_e32 v3, v3, v33
	v_lshrrev_b32_e32 v39, 3, v10
	v_xor_b32_e32 v30, v37, v38
	v_xad_u32 v28, v28, v36, v4
	v_lshrrev_b32_e32 v36, 3, v6
	v_xor_b32_e32 v27, v34, v35
	v_alignbit_b32 v34, v8, v8, 7
	v_alignbit_b32 v35, v8, v8, 18
	v_add3_u32 v2, v14, v4, v2
	v_add3_u32 v3, v0, v5, v3
	v_xad_u32 v30, v30, v39, v5
	v_alignbit_b32 v37, v7, v7, 7
	v_alignbit_b32 v38, v7, v7, 18
	v_xad_u32 v27, v27, v36, v10
	v_lshrrev_b32_e32 v36, 3, v8
	v_xor_b32_e32 v12, v34, v35
	v_alignbit_b32 v0, v2, v2, 17
	v_alignbit_b32 v4, v2, v2, 19
	;; [unrolled: 1-line block ×4, first 2 shown]
	v_lshrrev_b32_e32 v39, 3, v7
	v_xor_b32_e32 v31, v37, v38
	v_alignbit_b32 v37, v9, v9, 7
	v_alignbit_b32 v38, v9, v9, 18
	v_xad_u32 v33, v12, v36, v7
	v_lshrrev_b32_e32 v12, 10, v3
	v_lshrrev_b32_e32 v14, 10, v2
	v_alignbit_b32 v34, v2, v2, 7
	v_alignbit_b32 v35, v2, v2, 18
	v_xor_b32_e32 v5, v5, v11
	v_xor_b32_e32 v0, v0, v4
	v_xad_u32 v31, v31, v39, v6
	v_lshrrev_b32_e32 v39, 3, v9
	v_xor_b32_e32 v20, v37, v38
	v_lshrrev_b32_e32 v36, 3, v2
	v_alignbit_b32 v37, v3, v3, 7
	v_alignbit_b32 v38, v3, v3, 18
	v_xor_b32_e32 v4, v34, v35
	v_xor_b32_e32 v0, v0, v14
	;; [unrolled: 1-line block ×3, first 2 shown]
	v_xad_u32 v20, v20, v39, v8
	v_lshrrev_b32_e32 v39, 3, v3
	v_xor_b32_e32 v11, v37, v38
	v_xad_u32 v14, v4, v36, v9
	v_add3_u32 v5, v13, v6, v5
	v_add3_u32 v4, v15, v10, v0
	global_store_dword v[16:17], v10, off offset:-132
	global_store_dwordx4 v[16:17], v[6:9], off offset:-128
	v_xad_u32 v34, v11, v39, v2
	v_alignbit_b32 v0, v4, v4, 17
	v_alignbit_b32 v6, v5, v5, 17
	;; [unrolled: 1-line block ×4, first 2 shown]
	v_lshrrev_b32_e32 v12, 10, v5
	v_lshrrev_b32_e32 v13, 10, v4
	v_alignbit_b32 v15, v4, v4, 7
	v_alignbit_b32 v35, v4, v4, 18
	;; [unrolled: 1-line block ×4, first 2 shown]
	v_xor_b32_e32 v6, v6, v11
	v_xor_b32_e32 v0, v0, v10
	v_lshrrev_b32_e32 v36, 3, v4
	v_lshrrev_b32_e32 v39, 3, v5
	v_xor_b32_e32 v10, v15, v35
	v_xor_b32_e32 v11, v37, v38
	;; [unrolled: 1-line block ×4, first 2 shown]
	v_xad_u32 v15, v10, v36, v3
	v_xad_u32 v35, v11, v39, v4
	v_add3_u32 v11, v25, v8, v6
	v_add3_u32 v10, v21, v7, v0
	v_alignbit_b32 v0, v10, v10, 17
	v_alignbit_b32 v6, v11, v11, 17
	;; [unrolled: 1-line block ×4, first 2 shown]
	v_lshrrev_b32_e32 v12, 10, v11
	v_lshrrev_b32_e32 v13, 10, v10
	v_xor_b32_e32 v6, v6, v8
	v_xor_b32_e32 v0, v0, v7
	v_alignbit_b32 v21, v10, v10, 7
	v_alignbit_b32 v25, v10, v10, 18
	v_xor_b32_e32 v0, v0, v13
	v_xor_b32_e32 v6, v6, v12
	v_lshrrev_b32_e32 v36, 3, v10
	v_alignbit_b32 v37, v11, v11, 7
	v_alignbit_b32 v38, v11, v11, 18
	v_xor_b32_e32 v7, v21, v25
	v_add3_u32 v13, v29, v2, v6
	v_add3_u32 v12, v26, v9, v0
	global_store_dwordx4 v[16:17], v[2:5], off offset:-112
	v_lshrrev_b32_e32 v39, 3, v11
	v_xor_b32_e32 v8, v37, v38
	v_xad_u32 v21, v7, v36, v5
	v_alignbit_b32 v0, v12, v12, 17
	v_alignbit_b32 v2, v13, v13, 17
	;; [unrolled: 1-line block ×4, first 2 shown]
	v_xad_u32 v25, v8, v39, v10
	v_lshrrev_b32_e32 v8, 10, v13
	v_lshrrev_b32_e32 v9, 10, v12
	v_alignbit_b32 v26, v12, v12, 7
	v_alignbit_b32 v29, v12, v12, 18
	;; [unrolled: 1-line block ×4, first 2 shown]
	v_xor_b32_e32 v2, v2, v7
	v_xor_b32_e32 v0, v0, v6
	v_lshrrev_b32_e32 v36, 3, v12
	v_lshrrev_b32_e32 v39, 3, v13
	v_xor_b32_e32 v6, v26, v29
	v_xor_b32_e32 v7, v37, v38
	;; [unrolled: 1-line block ×4, first 2 shown]
	v_xad_u32 v26, v6, v36, v11
	v_xad_u32 v29, v7, v39, v12
	v_add3_u32 v7, v28, v4, v2
	v_add3_u32 v6, v3, v32, v0
	v_alignbit_b32 v0, v6, v6, 17
	v_alignbit_b32 v2, v7, v7, 17
	;; [unrolled: 1-line block ×4, first 2 shown]
	v_lshrrev_b32_e32 v8, 10, v7
	v_lshrrev_b32_e32 v9, 10, v6
	v_xor_b32_e32 v2, v2, v4
	v_xor_b32_e32 v0, v0, v3
	v_alignbit_b32 v28, v6, v6, 7
	v_alignbit_b32 v32, v6, v6, 18
	;; [unrolled: 1-line block ×4, first 2 shown]
	v_xor_b32_e32 v0, v0, v9
	v_xor_b32_e32 v2, v2, v8
	v_lshrrev_b32_e32 v36, 3, v6
	v_lshrrev_b32_e32 v39, 3, v7
	v_xor_b32_e32 v3, v28, v32
	v_xor_b32_e32 v4, v37, v38
	v_add3_u32 v9, v27, v10, v2
	v_add3_u32 v8, v30, v5, v0
	v_xad_u32 v28, v3, v36, v13
	v_xad_u32 v32, v4, v39, v6
	v_alignbit_b32 v0, v8, v8, 17
	v_alignbit_b32 v2, v9, v9, 17
	;; [unrolled: 1-line block ×4, first 2 shown]
	global_store_dwordx4 v[16:17], v[10:13], off offset:-96
	v_lshrrev_b32_e32 v5, 10, v9
	v_lshrrev_b32_e32 v10, 10, v8
	v_alignbit_b32 v27, v8, v8, 7
	v_alignbit_b32 v30, v8, v8, 18
	v_xor_b32_e32 v2, v2, v4
	v_xor_b32_e32 v0, v0, v3
	v_lshrrev_b32_e32 v36, 3, v8
	v_alignbit_b32 v37, v9, v9, 7
	v_alignbit_b32 v38, v9, v9, 18
	v_xor_b32_e32 v3, v27, v30
	v_xor_b32_e32 v0, v0, v10
	;; [unrolled: 1-line block ×3, first 2 shown]
	v_lshrrev_b32_e32 v39, 3, v9
	v_xor_b32_e32 v4, v37, v38
	v_xad_u32 v27, v3, v36, v7
	v_add3_u32 v3, v33, v12, v2
	v_add3_u32 v2, v31, v11, v0
	v_xad_u32 v30, v4, v39, v8
	v_alignbit_b32 v0, v2, v2, 17
	v_alignbit_b32 v4, v3, v3, 17
	;; [unrolled: 1-line block ×4, first 2 shown]
	v_lshrrev_b32_e32 v11, 10, v3
	v_lshrrev_b32_e32 v12, 10, v2
	v_alignbit_b32 v31, v2, v2, 7
	v_alignbit_b32 v33, v2, v2, 18
	v_xor_b32_e32 v4, v4, v10
	v_xor_b32_e32 v0, v0, v5
	v_lshrrev_b32_e32 v36, 3, v2
	v_alignbit_b32 v37, v3, v3, 7
	v_alignbit_b32 v38, v3, v3, 18
	v_xor_b32_e32 v5, v31, v33
	v_xor_b32_e32 v0, v0, v12
	;; [unrolled: 1-line block ×3, first 2 shown]
	v_lshrrev_b32_e32 v39, 3, v3
	v_xor_b32_e32 v10, v37, v38
	v_xad_u32 v31, v5, v36, v9
	v_add3_u32 v5, v14, v6, v4
	v_add3_u32 v4, v20, v13, v0
	global_store_dwordx4 v[16:17], v[6:9], off offset:-80
	v_xad_u32 v33, v10, v39, v2
	v_alignbit_b32 v0, v4, v4, 17
	v_alignbit_b32 v6, v5, v5, 17
	;; [unrolled: 1-line block ×4, first 2 shown]
	v_lshrrev_b32_e32 v12, 10, v5
	v_lshrrev_b32_e32 v13, 10, v4
	v_alignbit_b32 v14, v4, v4, 7
	v_alignbit_b32 v20, v4, v4, 18
	v_xor_b32_e32 v6, v6, v11
	v_xor_b32_e32 v0, v0, v10
	v_lshrrev_b32_e32 v36, 3, v4
	v_xor_b32_e32 v10, v14, v20
	v_xor_b32_e32 v0, v0, v13
	;; [unrolled: 1-line block ×3, first 2 shown]
	v_xad_u32 v14, v10, v36, v3
	v_add3_u32 v11, v15, v8, v6
	v_add3_u32 v10, v34, v7, v0
	v_alignbit_b32 v0, v10, v10, 17
	v_alignbit_b32 v6, v11, v11, 17
	;; [unrolled: 1-line block ×4, first 2 shown]
	v_lshrrev_b32_e32 v12, 10, v11
	v_lshrrev_b32_e32 v13, 10, v10
	v_xor_b32_e32 v6, v6, v8
	v_xor_b32_e32 v0, v0, v7
	;; [unrolled: 1-line block ×4, first 2 shown]
	v_add3_u32 v13, v21, v2, v6
	v_add3_u32 v12, v35, v9, v0
	global_store_dwordx4 v[16:17], v[2:5], off offset:-64
	v_alignbit_b32 v0, v12, v12, 17
	v_alignbit_b32 v2, v13, v13, 17
	;; [unrolled: 1-line block ×4, first 2 shown]
	v_lshrrev_b32_e32 v8, 10, v13
	v_lshrrev_b32_e32 v9, 10, v12
	v_xor_b32_e32 v2, v2, v7
	v_xor_b32_e32 v0, v0, v6
	;; [unrolled: 1-line block ×4, first 2 shown]
	v_add3_u32 v7, v26, v4, v2
	v_add3_u32 v6, v25, v3, v0
	v_alignbit_b32 v0, v6, v6, 17
	v_alignbit_b32 v2, v7, v7, 17
	;; [unrolled: 1-line block ×4, first 2 shown]
	v_lshrrev_b32_e32 v8, 10, v7
	v_lshrrev_b32_e32 v9, 10, v6
	v_xor_b32_e32 v2, v2, v4
	v_xor_b32_e32 v0, v0, v3
	;; [unrolled: 1-line block ×4, first 2 shown]
	v_add3_u32 v9, v28, v10, v2
	v_add3_u32 v8, v29, v5, v0
	v_alignbit_b32 v0, v8, v8, 17
	v_alignbit_b32 v2, v9, v9, 17
	v_alignbit_b32 v3, v8, v8, 19
	v_alignbit_b32 v4, v9, v9, 19
	global_store_dwordx4 v[16:17], v[6:9], off offset:-32
	v_lshrrev_b32_e32 v5, 10, v9
	v_lshrrev_b32_e32 v9, 10, v8
	v_xor_b32_e32 v2, v2, v4
	v_xor_b32_e32 v0, v0, v3
	;; [unrolled: 1-line block ×4, first 2 shown]
	v_add3_u32 v3, v27, v12, v2
	v_add3_u32 v2, v32, v11, v0
	v_alignbit_b32 v0, v2, v2, 17
	v_alignbit_b32 v4, v3, v3, 17
	;; [unrolled: 1-line block ×4, first 2 shown]
	global_store_dwordx4 v[16:17], v[10:13], off offset:-48
	v_xor_b32_e32 v4, v4, v9
	v_lshrrev_b32_e32 v10, 10, v3
	v_lshrrev_b32_e32 v11, 10, v2
	v_xor_b32_e32 v0, v0, v5
	v_xor_b32_e32 v0, v0, v11
	;; [unrolled: 1-line block ×3, first 2 shown]
	v_add3_u32 v5, v31, v6, v4
	v_add3_u32 v4, v30, v13, v0
	global_store_dwordx4 v[16:17], v[2:5], off offset:-16
	v_alignbit_b32 v0, v4, v4, 17
	v_alignbit_b32 v2, v5, v5, 17
	;; [unrolled: 1-line block ×4, first 2 shown]
	v_lshrrev_b32_e32 v5, 10, v5
	v_lshrrev_b32_e32 v4, 10, v4
	v_xor_b32_e32 v2, v2, v6
	v_xor_b32_e32 v0, v0, v3
	;; [unrolled: 1-line block ×4, first 2 shown]
	v_add3_u32 v3, v14, v8, v2
	v_add3_u32 v2, v33, v7, v0
	s_or_b64 s[8:9], vcc, s[8:9]
	global_store_dwordx2 v[16:17], v[2:3], off
	v_add_co_u32_e32 v16, vcc, s6, v16
	v_addc_co_u32_e32 v17, vcc, v17, v23, vcc
	s_andn2_b64 exec, exec, s[8:9]
	s_cbranch_execnz .LBB0_2
.LBB0_3:
	s_endpgm
	.section	.rodata,"a",@progbits
	.p2align	6, 0x0
	.amdhsa_kernel _Z14kernel_w_blockPKhS0_Pj
		.amdhsa_group_segment_fixed_size 0
		.amdhsa_private_segment_fixed_size 0
		.amdhsa_kernarg_size 280
		.amdhsa_user_sgpr_count 6
		.amdhsa_user_sgpr_private_segment_buffer 1
		.amdhsa_user_sgpr_dispatch_ptr 0
		.amdhsa_user_sgpr_queue_ptr 0
		.amdhsa_user_sgpr_kernarg_segment_ptr 1
		.amdhsa_user_sgpr_dispatch_id 0
		.amdhsa_user_sgpr_flat_scratch_init 0
		.amdhsa_user_sgpr_kernarg_preload_length 0
		.amdhsa_user_sgpr_kernarg_preload_offset 0
		.amdhsa_user_sgpr_private_segment_size 0
		.amdhsa_uses_dynamic_stack 0
		.amdhsa_system_sgpr_private_segment_wavefront_offset 0
		.amdhsa_system_sgpr_workgroup_id_x 1
		.amdhsa_system_sgpr_workgroup_id_y 0
		.amdhsa_system_sgpr_workgroup_id_z 0
		.amdhsa_system_sgpr_workgroup_info 0
		.amdhsa_system_vgpr_workitem_id 0
		.amdhsa_next_free_vgpr 60
		.amdhsa_next_free_sgpr 27
		.amdhsa_accum_offset 60
		.amdhsa_reserve_vcc 1
		.amdhsa_reserve_flat_scratch 0
		.amdhsa_float_round_mode_32 0
		.amdhsa_float_round_mode_16_64 0
		.amdhsa_float_denorm_mode_32 3
		.amdhsa_float_denorm_mode_16_64 3
		.amdhsa_dx10_clamp 1
		.amdhsa_ieee_mode 1
		.amdhsa_fp16_overflow 0
		.amdhsa_tg_split 0
		.amdhsa_exception_fp_ieee_invalid_op 0
		.amdhsa_exception_fp_denorm_src 0
		.amdhsa_exception_fp_ieee_div_zero 0
		.amdhsa_exception_fp_ieee_overflow 0
		.amdhsa_exception_fp_ieee_underflow 0
		.amdhsa_exception_fp_ieee_inexact 0
		.amdhsa_exception_int_div_zero 0
	.end_amdhsa_kernel
	.text
.Lfunc_end0:
	.size	_Z14kernel_w_blockPKhS0_Pj, .Lfunc_end0-_Z14kernel_w_blockPKhS0_Pj
                                        ; -- End function
	.section	.AMDGPU.csdata,"",@progbits
; Kernel info:
; codeLenInByte = 4268
; NumSgprs: 31
; NumVgprs: 60
; NumAgprs: 0
; TotalNumVgprs: 60
; ScratchSize: 0
; MemoryBound: 0
; FloatMode: 240
; IeeeMode: 1
; LDSByteSize: 0 bytes/workgroup (compile time only)
; SGPRBlocks: 3
; VGPRBlocks: 7
; NumSGPRsForWavesPerEU: 31
; NumVGPRsForWavesPerEU: 60
; AccumOffset: 60
; Occupancy: 8
; WaveLimiterHint : 0
; COMPUTE_PGM_RSRC2:SCRATCH_EN: 0
; COMPUTE_PGM_RSRC2:USER_SGPR: 6
; COMPUTE_PGM_RSRC2:TRAP_HANDLER: 0
; COMPUTE_PGM_RSRC2:TGID_X_EN: 1
; COMPUTE_PGM_RSRC2:TGID_Y_EN: 0
; COMPUTE_PGM_RSRC2:TGID_Z_EN: 0
; COMPUTE_PGM_RSRC2:TIDIG_COMP_CNT: 0
; COMPUTE_PGM_RSRC3_GFX90A:ACCUM_OFFSET: 14
; COMPUTE_PGM_RSRC3_GFX90A:TG_SPLIT: 0
	.text
	.p2alignl 6, 3212836864
	.fill 256, 4, 3212836864
	.type	__hip_cuid_d55c56adb9e91509,@object ; @__hip_cuid_d55c56adb9e91509
	.section	.bss,"aw",@nobits
	.globl	__hip_cuid_d55c56adb9e91509
__hip_cuid_d55c56adb9e91509:
	.byte	0                               ; 0x0
	.size	__hip_cuid_d55c56adb9e91509, 1

	.ident	"AMD clang version 19.0.0git (https://github.com/RadeonOpenCompute/llvm-project roc-6.4.0 25133 c7fe45cf4b819c5991fe208aaa96edf142730f1d)"
	.section	".note.GNU-stack","",@progbits
	.addrsig
	.addrsig_sym __hip_cuid_d55c56adb9e91509
	.amdgpu_metadata
---
amdhsa.kernels:
  - .agpr_count:     0
    .args:
      - .address_space:  global
        .offset:         0
        .size:           8
        .value_kind:     global_buffer
      - .address_space:  global
        .offset:         8
        .size:           8
        .value_kind:     global_buffer
      - .address_space:  global
        .offset:         16
        .size:           8
        .value_kind:     global_buffer
      - .offset:         24
        .size:           4
        .value_kind:     hidden_block_count_x
      - .offset:         28
        .size:           4
        .value_kind:     hidden_block_count_y
      - .offset:         32
        .size:           4
        .value_kind:     hidden_block_count_z
      - .offset:         36
        .size:           2
        .value_kind:     hidden_group_size_x
      - .offset:         38
        .size:           2
        .value_kind:     hidden_group_size_y
      - .offset:         40
        .size:           2
        .value_kind:     hidden_group_size_z
      - .offset:         42
        .size:           2
        .value_kind:     hidden_remainder_x
      - .offset:         44
        .size:           2
        .value_kind:     hidden_remainder_y
      - .offset:         46
        .size:           2
        .value_kind:     hidden_remainder_z
      - .offset:         64
        .size:           8
        .value_kind:     hidden_global_offset_x
      - .offset:         72
        .size:           8
        .value_kind:     hidden_global_offset_y
      - .offset:         80
        .size:           8
        .value_kind:     hidden_global_offset_z
      - .offset:         88
        .size:           2
        .value_kind:     hidden_grid_dims
    .group_segment_fixed_size: 0
    .kernarg_segment_align: 8
    .kernarg_segment_size: 280
    .language:       OpenCL C
    .language_version:
      - 2
      - 0
    .max_flat_workgroup_size: 1024
    .name:           _Z14kernel_w_blockPKhS0_Pj
    .private_segment_fixed_size: 0
    .sgpr_count:     31
    .sgpr_spill_count: 0
    .symbol:         _Z14kernel_w_blockPKhS0_Pj.kd
    .uniform_work_group_size: 1
    .uses_dynamic_stack: false
    .vgpr_count:     60
    .vgpr_spill_count: 0
    .wavefront_size: 64
amdhsa.target:   amdgcn-amd-amdhsa--gfx90a
amdhsa.version:
  - 1
  - 2
...

	.end_amdgpu_metadata
